;; amdgpu-corpus repo=ROCm/vllm kind=compiled arch=gfx1100 opt=O3
	.text
	.amdgcn_target "amdgcn-amd-amdhsa--gfx1100"
	.amdhsa_code_object_version 6
	.section	.text._ZN4vllm33apply_repetition_penalties_kernelIfEEvPT_PKbS4_PKS1_iii,"axG",@progbits,_ZN4vllm33apply_repetition_penalties_kernelIfEEvPT_PKbS4_PKS1_iii,comdat
	.protected	_ZN4vllm33apply_repetition_penalties_kernelIfEEvPT_PKbS4_PKS1_iii ; -- Begin function _ZN4vllm33apply_repetition_penalties_kernelIfEEvPT_PKbS4_PKS1_iii
	.globl	_ZN4vllm33apply_repetition_penalties_kernelIfEEvPT_PKbS4_PKS1_iii
	.p2align	8
	.type	_ZN4vllm33apply_repetition_penalties_kernelIfEEvPT_PKbS4_PKS1_iii,@function
_ZN4vllm33apply_repetition_penalties_kernelIfEEvPT_PKbS4_PKS1_iii: ; @_ZN4vllm33apply_repetition_penalties_kernelIfEEvPT_PKbS4_PKS1_iii
; %bb.0:
	s_load_b128 s[16:19], s[0:1], 0x20
	s_waitcnt lgkmcnt(0)
	s_cmp_ge_i32 s14, s16
	s_cbranch_scc1 .LBB0_12
; %bb.1:
	s_mul_i32 s2, s15, s18
	s_mov_b32 s3, exec_lo
	v_add_nc_u32_e32 v2, s2, v0
	s_add_i32 s2, s2, s18
	s_delay_alu instid0(SALU_CYCLE_1)
	s_min_i32 s2, s2, s17
	s_delay_alu instid0(VALU_DEP_1) | instid1(SALU_CYCLE_1)
	v_cmpx_gt_i32_e64 s2, v2
	s_cbranch_execz .LBB0_12
; %bb.2:
	s_load_b256 s[4:11], s[0:1], 0x0
	s_ashr_i32 s15, s14, 31
	s_mul_i32 s3, s17, s14
	s_lshl_b64 s[12:13], s[14:15], 2
	s_waitcnt lgkmcnt(0)
	s_add_u32 s10, s10, s12
	s_load_b32 s12, s[0:1], 0x3c
	s_addc_u32 s11, s11, s13
	s_mul_hi_i32 s1, s17, s14
	s_load_b32 s0, s[10:11], 0x0
	s_mov_b32 s11, 0
	s_waitcnt lgkmcnt(0)
	s_and_b32 s10, s12, 0xffff
	s_branch .LBB0_5
.LBB0_3:                                ;   in Loop: Header=BB0_5 Depth=1
	s_or_b32 exec_lo, exec_lo, s13
	global_store_b32 v[0:1], v4, off
.LBB0_4:                                ;   in Loop: Header=BB0_5 Depth=1
	s_or_b32 exec_lo, exec_lo, s12
	v_add_nc_u32_e32 v2, s10, v2
	s_delay_alu instid0(VALU_DEP_1) | instskip(SKIP_1) | instid1(SALU_CYCLE_1)
	v_cmp_le_i32_e32 vcc_lo, s2, v2
	s_or_b32 s11, vcc_lo, s11
	s_and_not1_b32 exec_lo, exec_lo, s11
	s_cbranch_execz .LBB0_12
.LBB0_5:                                ; =>This Inner Loop Header: Depth=1
	v_ashrrev_i32_e32 v1, 31, v2
	v_add_co_u32 v0, vcc_lo, s3, v2
	s_mov_b32 s13, -1
	s_delay_alu instid0(VALU_DEP_2) | instskip(NEXT) | instid1(VALU_DEP_2)
	v_add_co_ci_u32_e32 v1, vcc_lo, s1, v1, vcc_lo
	v_add_co_u32 v3, vcc_lo, s6, v0
	s_delay_alu instid0(VALU_DEP_2) | instskip(SKIP_3) | instid1(VALU_DEP_1)
	v_add_co_ci_u32_e32 v4, vcc_lo, s7, v1, vcc_lo
	global_load_u8 v3, v[3:4], off
	s_waitcnt vmcnt(0)
	v_and_b32_e32 v3, 1, v3
	v_cmp_eq_u32_e32 vcc_lo, 1, v3
	s_xor_b32 s14, vcc_lo, -1
	s_delay_alu instid0(SALU_CYCLE_1)
	s_and_saveexec_b32 s12, s14
	s_cbranch_execz .LBB0_7
; %bb.6:                                ;   in Loop: Header=BB0_5 Depth=1
	v_add_co_u32 v3, vcc_lo, s8, v0
	v_add_co_ci_u32_e32 v4, vcc_lo, s9, v1, vcc_lo
	global_load_u8 v3, v[3:4], off
	s_waitcnt vmcnt(0)
	v_and_b32_e32 v3, 1, v3
	s_delay_alu instid0(VALU_DEP_1)
	v_cmp_eq_u32_e32 vcc_lo, 1, v3
	s_or_not1_b32 s13, vcc_lo, exec_lo
.LBB0_7:                                ;   in Loop: Header=BB0_5 Depth=1
	s_or_b32 exec_lo, exec_lo, s12
	s_and_saveexec_b32 s12, s13
	s_cbranch_execz .LBB0_4
; %bb.8:                                ;   in Loop: Header=BB0_5 Depth=1
	v_lshlrev_b64 v[0:1], 2, v[0:1]
	s_mov_b32 s13, exec_lo
                                        ; implicit-def: $vgpr4
	s_delay_alu instid0(VALU_DEP_1) | instskip(NEXT) | instid1(VALU_DEP_2)
	v_add_co_u32 v0, vcc_lo, s4, v0
	v_add_co_ci_u32_e32 v1, vcc_lo, s5, v1, vcc_lo
	global_load_b32 v3, v[0:1], off
	s_waitcnt vmcnt(0)
	v_cmpx_nlt_f32_e32 0, v3
	s_xor_b32 s13, exec_lo, s13
; %bb.9:                                ;   in Loop: Header=BB0_5 Depth=1
	v_mul_f32_e32 v4, s0, v3
                                        ; implicit-def: $vgpr3
; %bb.10:                               ;   in Loop: Header=BB0_5 Depth=1
	s_and_not1_saveexec_b32 s13, s13
	s_cbranch_execz .LBB0_3
; %bb.11:                               ;   in Loop: Header=BB0_5 Depth=1
	v_div_scale_f32 v4, null, s0, s0, v3
	s_delay_alu instid0(VALU_DEP_1) | instskip(SKIP_2) | instid1(VALU_DEP_1)
	v_rcp_f32_e32 v5, v4
	s_waitcnt_depctr 0xfff
	v_fma_f32 v6, -v4, v5, 1.0
	v_fmac_f32_e32 v5, v6, v5
	v_div_scale_f32 v6, vcc_lo, v3, s0, v3
	s_delay_alu instid0(VALU_DEP_1) | instskip(NEXT) | instid1(VALU_DEP_1)
	v_mul_f32_e32 v7, v6, v5
	v_fma_f32 v8, -v4, v7, v6
	s_delay_alu instid0(VALU_DEP_1) | instskip(NEXT) | instid1(VALU_DEP_1)
	v_fmac_f32_e32 v7, v8, v5
	v_fma_f32 v4, -v4, v7, v6
	s_delay_alu instid0(VALU_DEP_1) | instskip(NEXT) | instid1(VALU_DEP_1)
	v_div_fmas_f32 v4, v4, v5, v7
	v_div_fixup_f32 v4, v4, s0, v3
	s_branch .LBB0_3
.LBB0_12:
	s_nop 0
	s_sendmsg sendmsg(MSG_DEALLOC_VGPRS)
	s_endpgm
	.section	.rodata,"a",@progbits
	.p2align	6, 0x0
	.amdhsa_kernel _ZN4vllm33apply_repetition_penalties_kernelIfEEvPT_PKbS4_PKS1_iii
		.amdhsa_group_segment_fixed_size 0
		.amdhsa_private_segment_fixed_size 0
		.amdhsa_kernarg_size 304
		.amdhsa_user_sgpr_count 14
		.amdhsa_user_sgpr_dispatch_ptr 0
		.amdhsa_user_sgpr_queue_ptr 0
		.amdhsa_user_sgpr_kernarg_segment_ptr 1
		.amdhsa_user_sgpr_dispatch_id 0
		.amdhsa_user_sgpr_private_segment_size 0
		.amdhsa_wavefront_size32 1
		.amdhsa_uses_dynamic_stack 0
		.amdhsa_enable_private_segment 0
		.amdhsa_system_sgpr_workgroup_id_x 1
		.amdhsa_system_sgpr_workgroup_id_y 1
		.amdhsa_system_sgpr_workgroup_id_z 0
		.amdhsa_system_sgpr_workgroup_info 0
		.amdhsa_system_vgpr_workitem_id 0
		.amdhsa_next_free_vgpr 9
		.amdhsa_next_free_sgpr 20
		.amdhsa_reserve_vcc 1
		.amdhsa_float_round_mode_32 0
		.amdhsa_float_round_mode_16_64 0
		.amdhsa_float_denorm_mode_32 3
		.amdhsa_float_denorm_mode_16_64 3
		.amdhsa_dx10_clamp 1
		.amdhsa_ieee_mode 1
		.amdhsa_fp16_overflow 0
		.amdhsa_workgroup_processor_mode 1
		.amdhsa_memory_ordered 1
		.amdhsa_forward_progress 0
		.amdhsa_shared_vgpr_count 0
		.amdhsa_exception_fp_ieee_invalid_op 0
		.amdhsa_exception_fp_denorm_src 0
		.amdhsa_exception_fp_ieee_div_zero 0
		.amdhsa_exception_fp_ieee_overflow 0
		.amdhsa_exception_fp_ieee_underflow 0
		.amdhsa_exception_fp_ieee_inexact 0
		.amdhsa_exception_int_div_zero 0
	.end_amdhsa_kernel
	.section	.text._ZN4vllm33apply_repetition_penalties_kernelIfEEvPT_PKbS4_PKS1_iii,"axG",@progbits,_ZN4vllm33apply_repetition_penalties_kernelIfEEvPT_PKbS4_PKS1_iii,comdat
.Lfunc_end0:
	.size	_ZN4vllm33apply_repetition_penalties_kernelIfEEvPT_PKbS4_PKS1_iii, .Lfunc_end0-_ZN4vllm33apply_repetition_penalties_kernelIfEEvPT_PKbS4_PKS1_iii
                                        ; -- End function
	.section	.AMDGPU.csdata,"",@progbits
; Kernel info:
; codeLenInByte = 468
; NumSgprs: 22
; NumVgprs: 9
; ScratchSize: 0
; MemoryBound: 0
; FloatMode: 240
; IeeeMode: 1
; LDSByteSize: 0 bytes/workgroup (compile time only)
; SGPRBlocks: 2
; VGPRBlocks: 1
; NumSGPRsForWavesPerEU: 22
; NumVGPRsForWavesPerEU: 9
; Occupancy: 16
; WaveLimiterHint : 0
; COMPUTE_PGM_RSRC2:SCRATCH_EN: 0
; COMPUTE_PGM_RSRC2:USER_SGPR: 14
; COMPUTE_PGM_RSRC2:TRAP_HANDLER: 0
; COMPUTE_PGM_RSRC2:TGID_X_EN: 1
; COMPUTE_PGM_RSRC2:TGID_Y_EN: 1
; COMPUTE_PGM_RSRC2:TGID_Z_EN: 0
; COMPUTE_PGM_RSRC2:TIDIG_COMP_CNT: 0
	.section	.text._ZN4vllm33apply_repetition_penalties_kernelIN3c104HalfEEEvPT_PKbS6_PKS3_iii,"axG",@progbits,_ZN4vllm33apply_repetition_penalties_kernelIN3c104HalfEEEvPT_PKbS6_PKS3_iii,comdat
	.protected	_ZN4vllm33apply_repetition_penalties_kernelIN3c104HalfEEEvPT_PKbS6_PKS3_iii ; -- Begin function _ZN4vllm33apply_repetition_penalties_kernelIN3c104HalfEEEvPT_PKbS6_PKS3_iii
	.globl	_ZN4vllm33apply_repetition_penalties_kernelIN3c104HalfEEEvPT_PKbS6_PKS3_iii
	.p2align	8
	.type	_ZN4vllm33apply_repetition_penalties_kernelIN3c104HalfEEEvPT_PKbS6_PKS3_iii,@function
_ZN4vllm33apply_repetition_penalties_kernelIN3c104HalfEEEvPT_PKbS6_PKS3_iii: ; @_ZN4vllm33apply_repetition_penalties_kernelIN3c104HalfEEEvPT_PKbS6_PKS3_iii
; %bb.0:
	s_load_b128 s[16:19], s[0:1], 0x20
	s_waitcnt lgkmcnt(0)
	s_cmp_ge_i32 s14, s16
	s_cbranch_scc1 .LBB1_12
; %bb.1:
	s_mul_i32 s2, s15, s18
	s_mov_b32 s3, exec_lo
	v_add_nc_u32_e32 v2, s2, v0
	s_add_i32 s2, s2, s18
	s_delay_alu instid0(SALU_CYCLE_1)
	s_min_i32 s2, s2, s17
	s_delay_alu instid0(VALU_DEP_1) | instid1(SALU_CYCLE_1)
	v_cmpx_gt_i32_e64 s2, v2
	s_cbranch_execz .LBB1_12
; %bb.2:
	s_load_b256 s[4:11], s[0:1], 0x0
	s_ashr_i32 s15, s14, 31
	v_mov_b32_e32 v0, 0
	s_lshl_b64 s[12:13], s[14:15], 1
	s_load_b32 s3, s[0:1], 0x3c
	s_mul_hi_i32 s0, s17, s14
	s_mul_i32 s1, s17, s14
	s_waitcnt lgkmcnt(0)
	s_add_u32 s10, s10, s12
	s_addc_u32 s11, s11, s13
	global_load_u16 v3, v0, s[10:11]
	s_and_b32 s3, s3, 0xffff
	s_mov_b32 s10, 0
	s_waitcnt vmcnt(0)
	v_cvt_f32_f16_e32 v0, v3
	s_delay_alu instid0(VALU_DEP_1)
	v_rcp_f32_e32 v4, v0
	s_branch .LBB1_5
.LBB1_3:                                ;   in Loop: Header=BB1_5 Depth=1
	s_or_b32 exec_lo, exec_lo, s12
	global_store_b16 v[0:1], v6, off
.LBB1_4:                                ;   in Loop: Header=BB1_5 Depth=1
	s_or_b32 exec_lo, exec_lo, s11
	v_add_nc_u32_e32 v2, s3, v2
	s_delay_alu instid0(VALU_DEP_1) | instskip(SKIP_1) | instid1(SALU_CYCLE_1)
	v_cmp_le_i32_e32 vcc_lo, s2, v2
	s_or_b32 s10, vcc_lo, s10
	s_and_not1_b32 exec_lo, exec_lo, s10
	s_cbranch_execz .LBB1_12
.LBB1_5:                                ; =>This Inner Loop Header: Depth=1
	v_ashrrev_i32_e32 v1, 31, v2
	v_add_co_u32 v0, vcc_lo, s1, v2
	s_mov_b32 s12, -1
	s_delay_alu instid0(VALU_DEP_2) | instskip(NEXT) | instid1(VALU_DEP_2)
	v_add_co_ci_u32_e32 v1, vcc_lo, s0, v1, vcc_lo
	v_add_co_u32 v5, vcc_lo, s6, v0
	s_delay_alu instid0(VALU_DEP_2) | instskip(SKIP_3) | instid1(VALU_DEP_1)
	v_add_co_ci_u32_e32 v6, vcc_lo, s7, v1, vcc_lo
	global_load_u8 v5, v[5:6], off
	s_waitcnt vmcnt(0)
	v_and_b32_e32 v5, 1, v5
	v_cmp_eq_u32_e32 vcc_lo, 1, v5
	s_xor_b32 s13, vcc_lo, -1
	s_delay_alu instid0(SALU_CYCLE_1)
	s_and_saveexec_b32 s11, s13
	s_cbranch_execz .LBB1_7
; %bb.6:                                ;   in Loop: Header=BB1_5 Depth=1
	v_add_co_u32 v5, vcc_lo, s8, v0
	v_add_co_ci_u32_e32 v6, vcc_lo, s9, v1, vcc_lo
	global_load_u8 v5, v[5:6], off
	s_waitcnt vmcnt(0)
	v_and_b32_e32 v5, 1, v5
	s_delay_alu instid0(VALU_DEP_1)
	v_cmp_eq_u32_e32 vcc_lo, 1, v5
	s_or_not1_b32 s12, vcc_lo, exec_lo
.LBB1_7:                                ;   in Loop: Header=BB1_5 Depth=1
	s_or_b32 exec_lo, exec_lo, s11
	s_and_saveexec_b32 s11, s12
	s_cbranch_execz .LBB1_4
; %bb.8:                                ;   in Loop: Header=BB1_5 Depth=1
	v_lshlrev_b64 v[0:1], 1, v[0:1]
	s_mov_b32 s12, exec_lo
                                        ; implicit-def: $vgpr6
	s_delay_alu instid0(VALU_DEP_1) | instskip(NEXT) | instid1(VALU_DEP_2)
	v_add_co_u32 v0, vcc_lo, s4, v0
	v_add_co_ci_u32_e32 v1, vcc_lo, s5, v1, vcc_lo
	global_load_u16 v5, v[0:1], off
	s_waitcnt vmcnt(0)
	v_cmpx_nlt_f16_e32 0, v5
	s_xor_b32 s12, exec_lo, s12
; %bb.9:                                ;   in Loop: Header=BB1_5 Depth=1
	v_mul_f16_e32 v6, v5, v3
                                        ; implicit-def: $vgpr5
; %bb.10:                               ;   in Loop: Header=BB1_5 Depth=1
	s_and_not1_saveexec_b32 s12, s12
	s_cbranch_execz .LBB1_3
; %bb.11:                               ;   in Loop: Header=BB1_5 Depth=1
	v_cvt_f32_f16_e32 v6, v5
	s_delay_alu instid0(VALU_DEP_1) | instskip(NEXT) | instid1(VALU_DEP_1)
	v_mul_f32_e32 v6, v6, v4
	v_fma_mix_f32 v7, -v3, v6, v5 op_sel_hi:[1,0,1]
	s_delay_alu instid0(VALU_DEP_1) | instskip(NEXT) | instid1(VALU_DEP_1)
	v_fmac_f32_e32 v6, v7, v4
	v_fma_mix_f32 v7, -v3, v6, v5 op_sel_hi:[1,0,1]
	s_delay_alu instid0(VALU_DEP_1) | instskip(NEXT) | instid1(VALU_DEP_1)
	v_mul_f32_e32 v7, v7, v4
	v_and_b32_e32 v7, 0xff800000, v7
	s_delay_alu instid0(VALU_DEP_1) | instskip(NEXT) | instid1(VALU_DEP_1)
	v_add_f32_e32 v6, v7, v6
	v_cvt_f16_f32_e32 v6, v6
	s_delay_alu instid0(VALU_DEP_1)
	v_div_fixup_f16 v6, v6, v3, v5
	s_branch .LBB1_3
.LBB1_12:
	s_nop 0
	s_sendmsg sendmsg(MSG_DEALLOC_VGPRS)
	s_endpgm
	.section	.rodata,"a",@progbits
	.p2align	6, 0x0
	.amdhsa_kernel _ZN4vllm33apply_repetition_penalties_kernelIN3c104HalfEEEvPT_PKbS6_PKS3_iii
		.amdhsa_group_segment_fixed_size 0
		.amdhsa_private_segment_fixed_size 0
		.amdhsa_kernarg_size 304
		.amdhsa_user_sgpr_count 14
		.amdhsa_user_sgpr_dispatch_ptr 0
		.amdhsa_user_sgpr_queue_ptr 0
		.amdhsa_user_sgpr_kernarg_segment_ptr 1
		.amdhsa_user_sgpr_dispatch_id 0
		.amdhsa_user_sgpr_private_segment_size 0
		.amdhsa_wavefront_size32 1
		.amdhsa_uses_dynamic_stack 0
		.amdhsa_enable_private_segment 0
		.amdhsa_system_sgpr_workgroup_id_x 1
		.amdhsa_system_sgpr_workgroup_id_y 1
		.amdhsa_system_sgpr_workgroup_id_z 0
		.amdhsa_system_sgpr_workgroup_info 0
		.amdhsa_system_vgpr_workitem_id 0
		.amdhsa_next_free_vgpr 8
		.amdhsa_next_free_sgpr 20
		.amdhsa_reserve_vcc 1
		.amdhsa_float_round_mode_32 0
		.amdhsa_float_round_mode_16_64 0
		.amdhsa_float_denorm_mode_32 3
		.amdhsa_float_denorm_mode_16_64 3
		.amdhsa_dx10_clamp 1
		.amdhsa_ieee_mode 1
		.amdhsa_fp16_overflow 0
		.amdhsa_workgroup_processor_mode 1
		.amdhsa_memory_ordered 1
		.amdhsa_forward_progress 0
		.amdhsa_shared_vgpr_count 0
		.amdhsa_exception_fp_ieee_invalid_op 0
		.amdhsa_exception_fp_denorm_src 0
		.amdhsa_exception_fp_ieee_div_zero 0
		.amdhsa_exception_fp_ieee_overflow 0
		.amdhsa_exception_fp_ieee_underflow 0
		.amdhsa_exception_fp_ieee_inexact 0
		.amdhsa_exception_int_div_zero 0
	.end_amdhsa_kernel
	.section	.text._ZN4vllm33apply_repetition_penalties_kernelIN3c104HalfEEEvPT_PKbS6_PKS3_iii,"axG",@progbits,_ZN4vllm33apply_repetition_penalties_kernelIN3c104HalfEEEvPT_PKbS6_PKS3_iii,comdat
.Lfunc_end1:
	.size	_ZN4vllm33apply_repetition_penalties_kernelIN3c104HalfEEEvPT_PKbS6_PKS3_iii, .Lfunc_end1-_ZN4vllm33apply_repetition_penalties_kernelIN3c104HalfEEEvPT_PKbS6_PKS3_iii
                                        ; -- End function
	.section	.AMDGPU.csdata,"",@progbits
; Kernel info:
; codeLenInByte = 468
; NumSgprs: 22
; NumVgprs: 8
; ScratchSize: 0
; MemoryBound: 0
; FloatMode: 240
; IeeeMode: 1
; LDSByteSize: 0 bytes/workgroup (compile time only)
; SGPRBlocks: 2
; VGPRBlocks: 0
; NumSGPRsForWavesPerEU: 22
; NumVGPRsForWavesPerEU: 8
; Occupancy: 16
; WaveLimiterHint : 0
; COMPUTE_PGM_RSRC2:SCRATCH_EN: 0
; COMPUTE_PGM_RSRC2:USER_SGPR: 14
; COMPUTE_PGM_RSRC2:TRAP_HANDLER: 0
; COMPUTE_PGM_RSRC2:TGID_X_EN: 1
; COMPUTE_PGM_RSRC2:TGID_Y_EN: 1
; COMPUTE_PGM_RSRC2:TGID_Z_EN: 0
; COMPUTE_PGM_RSRC2:TIDIG_COMP_CNT: 0
	.section	.text._ZN4vllm33apply_repetition_penalties_kernelIN3c108BFloat16EEEvPT_PKbS6_PKS3_iii,"axG",@progbits,_ZN4vllm33apply_repetition_penalties_kernelIN3c108BFloat16EEEvPT_PKbS6_PKS3_iii,comdat
	.protected	_ZN4vllm33apply_repetition_penalties_kernelIN3c108BFloat16EEEvPT_PKbS6_PKS3_iii ; -- Begin function _ZN4vllm33apply_repetition_penalties_kernelIN3c108BFloat16EEEvPT_PKbS6_PKS3_iii
	.globl	_ZN4vllm33apply_repetition_penalties_kernelIN3c108BFloat16EEEvPT_PKbS6_PKS3_iii
	.p2align	8
	.type	_ZN4vllm33apply_repetition_penalties_kernelIN3c108BFloat16EEEvPT_PKbS6_PKS3_iii,@function
_ZN4vllm33apply_repetition_penalties_kernelIN3c108BFloat16EEEvPT_PKbS6_PKS3_iii: ; @_ZN4vllm33apply_repetition_penalties_kernelIN3c108BFloat16EEEvPT_PKbS6_PKS3_iii
; %bb.0:
	s_load_b128 s[16:19], s[0:1], 0x20
	s_waitcnt lgkmcnt(0)
	s_cmp_ge_i32 s14, s16
	s_cbranch_scc1 .LBB2_12
; %bb.1:
	s_mul_i32 s2, s15, s18
	s_mov_b32 s3, exec_lo
	v_add_nc_u32_e32 v2, s2, v0
	s_add_i32 s2, s2, s18
	s_delay_alu instid0(SALU_CYCLE_1)
	s_min_i32 s2, s2, s17
	s_delay_alu instid0(VALU_DEP_1) | instid1(SALU_CYCLE_1)
	v_cmpx_gt_i32_e64 s2, v2
	s_cbranch_execz .LBB2_12
; %bb.2:
	s_load_b256 s[4:11], s[0:1], 0x0
	s_ashr_i32 s15, s14, 31
	v_mov_b32_e32 v0, 0
	s_lshl_b64 s[12:13], s[14:15], 1
	s_load_b32 s3, s[0:1], 0x3c
	s_mul_hi_i32 s0, s17, s14
	s_mul_i32 s1, s17, s14
	s_waitcnt lgkmcnt(0)
	s_add_u32 s10, s10, s12
	s_addc_u32 s11, s11, s13
	global_load_u16 v0, v0, s[10:11]
	s_and_b32 s3, s3, 0xffff
	s_mov_b32 s10, 0
	s_waitcnt vmcnt(0)
	v_lshlrev_b32_e32 v3, 16, v0
	s_branch .LBB2_5
.LBB2_3:                                ;   in Loop: Header=BB2_5 Depth=1
	s_or_b32 exec_lo, exec_lo, s12
	s_delay_alu instid0(VALU_DEP_1) | instskip(SKIP_1) | instid1(VALU_DEP_2)
	v_bfe_u32 v4, v5, 16, 1
	v_cmp_o_f32_e32 vcc_lo, v5, v5
	v_add3_u32 v4, v5, v4, 0x7fff
	s_delay_alu instid0(VALU_DEP_1) | instskip(NEXT) | instid1(VALU_DEP_1)
	v_lshrrev_b32_e32 v4, 16, v4
	v_cndmask_b32_e32 v4, 0x7fc0, v4, vcc_lo
	global_store_b16 v[0:1], v4, off
.LBB2_4:                                ;   in Loop: Header=BB2_5 Depth=1
	s_or_b32 exec_lo, exec_lo, s11
	v_add_nc_u32_e32 v2, s3, v2
	s_delay_alu instid0(VALU_DEP_1) | instskip(SKIP_1) | instid1(SALU_CYCLE_1)
	v_cmp_le_i32_e32 vcc_lo, s2, v2
	s_or_b32 s10, vcc_lo, s10
	s_and_not1_b32 exec_lo, exec_lo, s10
	s_cbranch_execz .LBB2_12
.LBB2_5:                                ; =>This Inner Loop Header: Depth=1
	v_ashrrev_i32_e32 v1, 31, v2
	v_add_co_u32 v0, vcc_lo, s1, v2
	s_mov_b32 s12, -1
	s_delay_alu instid0(VALU_DEP_2) | instskip(NEXT) | instid1(VALU_DEP_2)
	v_add_co_ci_u32_e32 v1, vcc_lo, s0, v1, vcc_lo
	v_add_co_u32 v4, vcc_lo, s6, v0
	s_delay_alu instid0(VALU_DEP_2) | instskip(SKIP_3) | instid1(VALU_DEP_1)
	v_add_co_ci_u32_e32 v5, vcc_lo, s7, v1, vcc_lo
	global_load_u8 v4, v[4:5], off
	s_waitcnt vmcnt(0)
	v_and_b32_e32 v4, 1, v4
	v_cmp_eq_u32_e32 vcc_lo, 1, v4
	s_xor_b32 s13, vcc_lo, -1
	s_delay_alu instid0(SALU_CYCLE_1)
	s_and_saveexec_b32 s11, s13
	s_cbranch_execz .LBB2_7
; %bb.6:                                ;   in Loop: Header=BB2_5 Depth=1
	v_add_co_u32 v4, vcc_lo, s8, v0
	v_add_co_ci_u32_e32 v5, vcc_lo, s9, v1, vcc_lo
	global_load_u8 v4, v[4:5], off
	s_waitcnt vmcnt(0)
	v_and_b32_e32 v4, 1, v4
	s_delay_alu instid0(VALU_DEP_1)
	v_cmp_eq_u32_e32 vcc_lo, 1, v4
	s_or_not1_b32 s12, vcc_lo, exec_lo
.LBB2_7:                                ;   in Loop: Header=BB2_5 Depth=1
	s_or_b32 exec_lo, exec_lo, s11
	s_and_saveexec_b32 s11, s12
	s_cbranch_execz .LBB2_4
; %bb.8:                                ;   in Loop: Header=BB2_5 Depth=1
	v_lshlrev_b64 v[0:1], 1, v[0:1]
	s_mov_b32 s12, exec_lo
                                        ; implicit-def: $vgpr5
	s_delay_alu instid0(VALU_DEP_1) | instskip(NEXT) | instid1(VALU_DEP_2)
	v_add_co_u32 v0, vcc_lo, s4, v0
	v_add_co_ci_u32_e32 v1, vcc_lo, s5, v1, vcc_lo
	global_load_u16 v4, v[0:1], off
	s_waitcnt vmcnt(0)
	v_lshlrev_b32_e32 v4, 16, v4
	s_delay_alu instid0(VALU_DEP_1)
	v_cmpx_nlt_f32_e32 0, v4
	s_xor_b32 s12, exec_lo, s12
; %bb.9:                                ;   in Loop: Header=BB2_5 Depth=1
	v_mul_f32_e32 v5, v3, v4
                                        ; implicit-def: $vgpr4
; %bb.10:                               ;   in Loop: Header=BB2_5 Depth=1
	s_and_not1_saveexec_b32 s12, s12
	s_cbranch_execz .LBB2_3
; %bb.11:                               ;   in Loop: Header=BB2_5 Depth=1
	v_div_scale_f32 v5, null, v3, v3, v4
	s_delay_alu instid0(VALU_DEP_1) | instskip(SKIP_2) | instid1(VALU_DEP_1)
	v_rcp_f32_e32 v6, v5
	s_waitcnt_depctr 0xfff
	v_fma_f32 v7, -v5, v6, 1.0
	v_fmac_f32_e32 v6, v7, v6
	v_div_scale_f32 v7, vcc_lo, v4, v3, v4
	s_delay_alu instid0(VALU_DEP_1) | instskip(NEXT) | instid1(VALU_DEP_1)
	v_mul_f32_e32 v8, v7, v6
	v_fma_f32 v9, -v5, v8, v7
	s_delay_alu instid0(VALU_DEP_1) | instskip(NEXT) | instid1(VALU_DEP_1)
	v_fmac_f32_e32 v8, v9, v6
	v_fma_f32 v5, -v5, v8, v7
	s_delay_alu instid0(VALU_DEP_1) | instskip(NEXT) | instid1(VALU_DEP_1)
	v_div_fmas_f32 v5, v5, v6, v8
	v_div_fixup_f32 v5, v5, v3, v4
	s_branch .LBB2_3
.LBB2_12:
	s_nop 0
	s_sendmsg sendmsg(MSG_DEALLOC_VGPRS)
	s_endpgm
	.section	.rodata,"a",@progbits
	.p2align	6, 0x0
	.amdhsa_kernel _ZN4vllm33apply_repetition_penalties_kernelIN3c108BFloat16EEEvPT_PKbS6_PKS3_iii
		.amdhsa_group_segment_fixed_size 0
		.amdhsa_private_segment_fixed_size 0
		.amdhsa_kernarg_size 304
		.amdhsa_user_sgpr_count 14
		.amdhsa_user_sgpr_dispatch_ptr 0
		.amdhsa_user_sgpr_queue_ptr 0
		.amdhsa_user_sgpr_kernarg_segment_ptr 1
		.amdhsa_user_sgpr_dispatch_id 0
		.amdhsa_user_sgpr_private_segment_size 0
		.amdhsa_wavefront_size32 1
		.amdhsa_uses_dynamic_stack 0
		.amdhsa_enable_private_segment 0
		.amdhsa_system_sgpr_workgroup_id_x 1
		.amdhsa_system_sgpr_workgroup_id_y 1
		.amdhsa_system_sgpr_workgroup_id_z 0
		.amdhsa_system_sgpr_workgroup_info 0
		.amdhsa_system_vgpr_workitem_id 0
		.amdhsa_next_free_vgpr 10
		.amdhsa_next_free_sgpr 20
		.amdhsa_reserve_vcc 1
		.amdhsa_float_round_mode_32 0
		.amdhsa_float_round_mode_16_64 0
		.amdhsa_float_denorm_mode_32 3
		.amdhsa_float_denorm_mode_16_64 3
		.amdhsa_dx10_clamp 1
		.amdhsa_ieee_mode 1
		.amdhsa_fp16_overflow 0
		.amdhsa_workgroup_processor_mode 1
		.amdhsa_memory_ordered 1
		.amdhsa_forward_progress 0
		.amdhsa_shared_vgpr_count 0
		.amdhsa_exception_fp_ieee_invalid_op 0
		.amdhsa_exception_fp_denorm_src 0
		.amdhsa_exception_fp_ieee_div_zero 0
		.amdhsa_exception_fp_ieee_overflow 0
		.amdhsa_exception_fp_ieee_underflow 0
		.amdhsa_exception_fp_ieee_inexact 0
		.amdhsa_exception_int_div_zero 0
	.end_amdhsa_kernel
	.section	.text._ZN4vllm33apply_repetition_penalties_kernelIN3c108BFloat16EEEvPT_PKbS6_PKS3_iii,"axG",@progbits,_ZN4vllm33apply_repetition_penalties_kernelIN3c108BFloat16EEEvPT_PKbS6_PKS3_iii,comdat
.Lfunc_end2:
	.size	_ZN4vllm33apply_repetition_penalties_kernelIN3c108BFloat16EEEvPT_PKbS6_PKS3_iii, .Lfunc_end2-_ZN4vllm33apply_repetition_penalties_kernelIN3c108BFloat16EEEvPT_PKbS6_PKS3_iii
                                        ; -- End function
	.section	.AMDGPU.csdata,"",@progbits
; Kernel info:
; codeLenInByte = 528
; NumSgprs: 22
; NumVgprs: 10
; ScratchSize: 0
; MemoryBound: 0
; FloatMode: 240
; IeeeMode: 1
; LDSByteSize: 0 bytes/workgroup (compile time only)
; SGPRBlocks: 2
; VGPRBlocks: 1
; NumSGPRsForWavesPerEU: 22
; NumVGPRsForWavesPerEU: 10
; Occupancy: 16
; WaveLimiterHint : 0
; COMPUTE_PGM_RSRC2:SCRATCH_EN: 0
; COMPUTE_PGM_RSRC2:USER_SGPR: 14
; COMPUTE_PGM_RSRC2:TRAP_HANDLER: 0
; COMPUTE_PGM_RSRC2:TGID_X_EN: 1
; COMPUTE_PGM_RSRC2:TGID_Y_EN: 1
; COMPUTE_PGM_RSRC2:TGID_Z_EN: 0
; COMPUTE_PGM_RSRC2:TIDIG_COMP_CNT: 0
	.text
	.p2alignl 7, 3214868480
	.fill 96, 4, 3214868480
	.type	__hip_cuid_65082ae79a4cec60,@object ; @__hip_cuid_65082ae79a4cec60
	.section	.bss,"aw",@nobits
	.globl	__hip_cuid_65082ae79a4cec60
__hip_cuid_65082ae79a4cec60:
	.byte	0                               ; 0x0
	.size	__hip_cuid_65082ae79a4cec60, 1

	.ident	"AMD clang version 19.0.0git (https://github.com/RadeonOpenCompute/llvm-project roc-6.4.0 25133 c7fe45cf4b819c5991fe208aaa96edf142730f1d)"
	.section	".note.GNU-stack","",@progbits
	.addrsig
	.addrsig_sym __hip_cuid_65082ae79a4cec60
	.amdgpu_metadata
---
amdhsa.kernels:
  - .args:
      - .address_space:  global
        .offset:         0
        .size:           8
        .value_kind:     global_buffer
      - .actual_access:  read_only
        .address_space:  global
        .offset:         8
        .size:           8
        .value_kind:     global_buffer
      - .actual_access:  read_only
        .address_space:  global
        .offset:         16
        .size:           8
        .value_kind:     global_buffer
      - .actual_access:  read_only
        .address_space:  global
        .offset:         24
        .size:           8
        .value_kind:     global_buffer
      - .offset:         32
        .size:           4
        .value_kind:     by_value
      - .offset:         36
        .size:           4
        .value_kind:     by_value
      - .offset:         40
        .size:           4
        .value_kind:     by_value
      - .offset:         48
        .size:           4
        .value_kind:     hidden_block_count_x
      - .offset:         52
        .size:           4
        .value_kind:     hidden_block_count_y
      - .offset:         56
        .size:           4
        .value_kind:     hidden_block_count_z
      - .offset:         60
        .size:           2
        .value_kind:     hidden_group_size_x
      - .offset:         62
        .size:           2
        .value_kind:     hidden_group_size_y
      - .offset:         64
        .size:           2
        .value_kind:     hidden_group_size_z
      - .offset:         66
        .size:           2
        .value_kind:     hidden_remainder_x
      - .offset:         68
        .size:           2
        .value_kind:     hidden_remainder_y
      - .offset:         70
        .size:           2
        .value_kind:     hidden_remainder_z
      - .offset:         88
        .size:           8
        .value_kind:     hidden_global_offset_x
      - .offset:         96
        .size:           8
        .value_kind:     hidden_global_offset_y
      - .offset:         104
        .size:           8
        .value_kind:     hidden_global_offset_z
      - .offset:         112
        .size:           2
        .value_kind:     hidden_grid_dims
    .group_segment_fixed_size: 0
    .kernarg_segment_align: 8
    .kernarg_segment_size: 304
    .language:       OpenCL C
    .language_version:
      - 2
      - 0
    .max_flat_workgroup_size: 1024
    .name:           _ZN4vllm33apply_repetition_penalties_kernelIfEEvPT_PKbS4_PKS1_iii
    .private_segment_fixed_size: 0
    .sgpr_count:     22
    .sgpr_spill_count: 0
    .symbol:         _ZN4vllm33apply_repetition_penalties_kernelIfEEvPT_PKbS4_PKS1_iii.kd
    .uniform_work_group_size: 1
    .uses_dynamic_stack: false
    .vgpr_count:     9
    .vgpr_spill_count: 0
    .wavefront_size: 32
    .workgroup_processor_mode: 1
  - .args:
      - .address_space:  global
        .offset:         0
        .size:           8
        .value_kind:     global_buffer
      - .actual_access:  read_only
        .address_space:  global
        .offset:         8
        .size:           8
        .value_kind:     global_buffer
      - .actual_access:  read_only
        .address_space:  global
        .offset:         16
        .size:           8
        .value_kind:     global_buffer
      - .actual_access:  read_only
        .address_space:  global
        .offset:         24
        .size:           8
        .value_kind:     global_buffer
      - .offset:         32
        .size:           4
        .value_kind:     by_value
      - .offset:         36
        .size:           4
        .value_kind:     by_value
      - .offset:         40
        .size:           4
        .value_kind:     by_value
      - .offset:         48
        .size:           4
        .value_kind:     hidden_block_count_x
      - .offset:         52
        .size:           4
        .value_kind:     hidden_block_count_y
      - .offset:         56
        .size:           4
        .value_kind:     hidden_block_count_z
      - .offset:         60
        .size:           2
        .value_kind:     hidden_group_size_x
      - .offset:         62
        .size:           2
        .value_kind:     hidden_group_size_y
      - .offset:         64
        .size:           2
        .value_kind:     hidden_group_size_z
      - .offset:         66
        .size:           2
        .value_kind:     hidden_remainder_x
      - .offset:         68
        .size:           2
        .value_kind:     hidden_remainder_y
      - .offset:         70
        .size:           2
        .value_kind:     hidden_remainder_z
      - .offset:         88
        .size:           8
        .value_kind:     hidden_global_offset_x
      - .offset:         96
        .size:           8
        .value_kind:     hidden_global_offset_y
      - .offset:         104
        .size:           8
        .value_kind:     hidden_global_offset_z
      - .offset:         112
        .size:           2
        .value_kind:     hidden_grid_dims
    .group_segment_fixed_size: 0
    .kernarg_segment_align: 8
    .kernarg_segment_size: 304
    .language:       OpenCL C
    .language_version:
      - 2
      - 0
    .max_flat_workgroup_size: 1024
    .name:           _ZN4vllm33apply_repetition_penalties_kernelIN3c104HalfEEEvPT_PKbS6_PKS3_iii
    .private_segment_fixed_size: 0
    .sgpr_count:     22
    .sgpr_spill_count: 0
    .symbol:         _ZN4vllm33apply_repetition_penalties_kernelIN3c104HalfEEEvPT_PKbS6_PKS3_iii.kd
    .uniform_work_group_size: 1
    .uses_dynamic_stack: false
    .vgpr_count:     8
    .vgpr_spill_count: 0
    .wavefront_size: 32
    .workgroup_processor_mode: 1
  - .args:
      - .address_space:  global
        .offset:         0
        .size:           8
        .value_kind:     global_buffer
      - .actual_access:  read_only
        .address_space:  global
        .offset:         8
        .size:           8
        .value_kind:     global_buffer
      - .actual_access:  read_only
        .address_space:  global
        .offset:         16
        .size:           8
        .value_kind:     global_buffer
      - .actual_access:  read_only
        .address_space:  global
        .offset:         24
        .size:           8
        .value_kind:     global_buffer
      - .offset:         32
        .size:           4
        .value_kind:     by_value
      - .offset:         36
        .size:           4
        .value_kind:     by_value
      - .offset:         40
        .size:           4
        .value_kind:     by_value
      - .offset:         48
        .size:           4
        .value_kind:     hidden_block_count_x
      - .offset:         52
        .size:           4
        .value_kind:     hidden_block_count_y
      - .offset:         56
        .size:           4
        .value_kind:     hidden_block_count_z
      - .offset:         60
        .size:           2
        .value_kind:     hidden_group_size_x
      - .offset:         62
        .size:           2
        .value_kind:     hidden_group_size_y
      - .offset:         64
        .size:           2
        .value_kind:     hidden_group_size_z
      - .offset:         66
        .size:           2
        .value_kind:     hidden_remainder_x
      - .offset:         68
        .size:           2
        .value_kind:     hidden_remainder_y
      - .offset:         70
        .size:           2
        .value_kind:     hidden_remainder_z
      - .offset:         88
        .size:           8
        .value_kind:     hidden_global_offset_x
      - .offset:         96
        .size:           8
        .value_kind:     hidden_global_offset_y
      - .offset:         104
        .size:           8
        .value_kind:     hidden_global_offset_z
      - .offset:         112
        .size:           2
        .value_kind:     hidden_grid_dims
    .group_segment_fixed_size: 0
    .kernarg_segment_align: 8
    .kernarg_segment_size: 304
    .language:       OpenCL C
    .language_version:
      - 2
      - 0
    .max_flat_workgroup_size: 1024
    .name:           _ZN4vllm33apply_repetition_penalties_kernelIN3c108BFloat16EEEvPT_PKbS6_PKS3_iii
    .private_segment_fixed_size: 0
    .sgpr_count:     22
    .sgpr_spill_count: 0
    .symbol:         _ZN4vllm33apply_repetition_penalties_kernelIN3c108BFloat16EEEvPT_PKbS6_PKS3_iii.kd
    .uniform_work_group_size: 1
    .uses_dynamic_stack: false
    .vgpr_count:     10
    .vgpr_spill_count: 0
    .wavefront_size: 32
    .workgroup_processor_mode: 1
amdhsa.target:   amdgcn-amd-amdhsa--gfx1100
amdhsa.version:
  - 1
  - 2
...

	.end_amdgpu_metadata
